;; amdgpu-corpus repo=ROCm/rocFFT kind=compiled arch=gfx906 opt=O3
	.text
	.amdgcn_target "amdgcn-amd-amdhsa--gfx906"
	.amdhsa_code_object_version 6
	.protected	fft_rtc_fwd_len66_factors_6_11_wgs_253_tpt_11_dp_ip_CI_unitstride_sbrr_R2C_dirReg ; -- Begin function fft_rtc_fwd_len66_factors_6_11_wgs_253_tpt_11_dp_ip_CI_unitstride_sbrr_R2C_dirReg
	.globl	fft_rtc_fwd_len66_factors_6_11_wgs_253_tpt_11_dp_ip_CI_unitstride_sbrr_R2C_dirReg
	.p2align	8
	.type	fft_rtc_fwd_len66_factors_6_11_wgs_253_tpt_11_dp_ip_CI_unitstride_sbrr_R2C_dirReg,@function
fft_rtc_fwd_len66_factors_6_11_wgs_253_tpt_11_dp_ip_CI_unitstride_sbrr_R2C_dirReg: ; @fft_rtc_fwd_len66_factors_6_11_wgs_253_tpt_11_dp_ip_CI_unitstride_sbrr_R2C_dirReg
; %bb.0:
	s_load_dwordx2 s[2:3], s[4:5], 0x50
	s_load_dwordx4 s[8:11], s[4:5], 0x0
	s_load_dwordx2 s[12:13], s[4:5], 0x18
	v_mul_u32_u24_e32 v1, 0x1746, v0
	v_lshrrev_b32_e32 v1, 16, v1
	v_mad_u64_u32 v[1:2], s[0:1], s6, 23, v[1:2]
	v_mov_b32_e32 v5, 0
	s_waitcnt lgkmcnt(0)
	v_cmp_lt_u64_e64 s[0:1], s[10:11], 2
	v_mov_b32_e32 v2, v5
	v_mov_b32_e32 v3, 0
	;; [unrolled: 1-line block ×3, first 2 shown]
	s_and_b64 vcc, exec, s[0:1]
	v_mov_b32_e32 v4, 0
	v_mov_b32_e32 v9, v1
	s_cbranch_vccnz .LBB0_8
; %bb.1:
	s_load_dwordx2 s[0:1], s[4:5], 0x10
	s_add_u32 s6, s12, 8
	s_addc_u32 s7, s13, 0
	v_mov_b32_e32 v3, 0
	v_mov_b32_e32 v8, v2
	s_waitcnt lgkmcnt(0)
	s_add_u32 s16, s0, 8
	s_mov_b64 s[14:15], 1
	v_mov_b32_e32 v4, 0
	s_addc_u32 s17, s1, 0
	v_mov_b32_e32 v7, v1
.LBB0_2:                                ; =>This Inner Loop Header: Depth=1
	s_load_dwordx2 s[18:19], s[16:17], 0x0
                                        ; implicit-def: $vgpr9_vgpr10
	s_waitcnt lgkmcnt(0)
	v_or_b32_e32 v6, s19, v8
	v_cmp_ne_u64_e32 vcc, 0, v[5:6]
	s_and_saveexec_b64 s[0:1], vcc
	s_xor_b64 s[20:21], exec, s[0:1]
	s_cbranch_execz .LBB0_4
; %bb.3:                                ;   in Loop: Header=BB0_2 Depth=1
	v_cvt_f32_u32_e32 v2, s18
	v_cvt_f32_u32_e32 v6, s19
	s_sub_u32 s0, 0, s18
	s_subb_u32 s1, 0, s19
	v_mac_f32_e32 v2, 0x4f800000, v6
	v_rcp_f32_e32 v2, v2
	v_mul_f32_e32 v2, 0x5f7ffffc, v2
	v_mul_f32_e32 v6, 0x2f800000, v2
	v_trunc_f32_e32 v6, v6
	v_mac_f32_e32 v2, 0xcf800000, v6
	v_cvt_u32_f32_e32 v6, v6
	v_cvt_u32_f32_e32 v2, v2
	v_mul_lo_u32 v9, s0, v6
	v_mul_hi_u32 v10, s0, v2
	v_mul_lo_u32 v12, s1, v2
	v_mul_lo_u32 v11, s0, v2
	v_add_u32_e32 v9, v10, v9
	v_add_u32_e32 v9, v9, v12
	v_mul_hi_u32 v10, v2, v11
	v_mul_lo_u32 v12, v2, v9
	v_mul_hi_u32 v14, v2, v9
	v_mul_hi_u32 v13, v6, v11
	v_mul_lo_u32 v11, v6, v11
	v_mul_hi_u32 v15, v6, v9
	v_add_co_u32_e32 v10, vcc, v10, v12
	v_addc_co_u32_e32 v12, vcc, 0, v14, vcc
	v_mul_lo_u32 v9, v6, v9
	v_add_co_u32_e32 v10, vcc, v10, v11
	v_addc_co_u32_e32 v10, vcc, v12, v13, vcc
	v_addc_co_u32_e32 v11, vcc, 0, v15, vcc
	v_add_co_u32_e32 v9, vcc, v10, v9
	v_addc_co_u32_e32 v10, vcc, 0, v11, vcc
	v_add_co_u32_e32 v2, vcc, v2, v9
	v_addc_co_u32_e32 v6, vcc, v6, v10, vcc
	v_mul_lo_u32 v9, s0, v6
	v_mul_hi_u32 v10, s0, v2
	v_mul_lo_u32 v11, s1, v2
	v_mul_lo_u32 v12, s0, v2
	v_add_u32_e32 v9, v10, v9
	v_add_u32_e32 v9, v9, v11
	v_mul_lo_u32 v13, v2, v9
	v_mul_hi_u32 v14, v2, v12
	v_mul_hi_u32 v15, v2, v9
	;; [unrolled: 1-line block ×3, first 2 shown]
	v_mul_lo_u32 v12, v6, v12
	v_mul_hi_u32 v10, v6, v9
	v_add_co_u32_e32 v13, vcc, v14, v13
	v_addc_co_u32_e32 v14, vcc, 0, v15, vcc
	v_mul_lo_u32 v9, v6, v9
	v_add_co_u32_e32 v12, vcc, v13, v12
	v_addc_co_u32_e32 v11, vcc, v14, v11, vcc
	v_addc_co_u32_e32 v10, vcc, 0, v10, vcc
	v_add_co_u32_e32 v9, vcc, v11, v9
	v_addc_co_u32_e32 v10, vcc, 0, v10, vcc
	v_add_co_u32_e32 v2, vcc, v2, v9
	v_addc_co_u32_e32 v6, vcc, v6, v10, vcc
	v_mad_u64_u32 v[9:10], s[0:1], v7, v6, 0
	v_mul_hi_u32 v11, v7, v2
	v_add_co_u32_e32 v13, vcc, v11, v9
	v_addc_co_u32_e32 v14, vcc, 0, v10, vcc
	v_mad_u64_u32 v[9:10], s[0:1], v8, v2, 0
	v_mad_u64_u32 v[11:12], s[0:1], v8, v6, 0
	v_add_co_u32_e32 v2, vcc, v13, v9
	v_addc_co_u32_e32 v2, vcc, v14, v10, vcc
	v_addc_co_u32_e32 v6, vcc, 0, v12, vcc
	v_add_co_u32_e32 v2, vcc, v2, v11
	v_addc_co_u32_e32 v6, vcc, 0, v6, vcc
	v_mul_lo_u32 v11, s19, v2
	v_mul_lo_u32 v12, s18, v6
	v_mad_u64_u32 v[9:10], s[0:1], s18, v2, 0
	v_add3_u32 v10, v10, v12, v11
	v_sub_u32_e32 v11, v8, v10
	v_mov_b32_e32 v12, s19
	v_sub_co_u32_e32 v9, vcc, v7, v9
	v_subb_co_u32_e64 v11, s[0:1], v11, v12, vcc
	v_subrev_co_u32_e64 v12, s[0:1], s18, v9
	v_subbrev_co_u32_e64 v11, s[0:1], 0, v11, s[0:1]
	v_cmp_le_u32_e64 s[0:1], s19, v11
	v_cndmask_b32_e64 v13, 0, -1, s[0:1]
	v_cmp_le_u32_e64 s[0:1], s18, v12
	v_cndmask_b32_e64 v12, 0, -1, s[0:1]
	v_cmp_eq_u32_e64 s[0:1], s19, v11
	v_cndmask_b32_e64 v11, v13, v12, s[0:1]
	v_add_co_u32_e64 v12, s[0:1], 2, v2
	v_addc_co_u32_e64 v13, s[0:1], 0, v6, s[0:1]
	v_add_co_u32_e64 v14, s[0:1], 1, v2
	v_addc_co_u32_e64 v15, s[0:1], 0, v6, s[0:1]
	v_subb_co_u32_e32 v10, vcc, v8, v10, vcc
	v_cmp_ne_u32_e64 s[0:1], 0, v11
	v_cmp_le_u32_e32 vcc, s19, v10
	v_cndmask_b32_e64 v11, v15, v13, s[0:1]
	v_cndmask_b32_e64 v13, 0, -1, vcc
	v_cmp_le_u32_e32 vcc, s18, v9
	v_cndmask_b32_e64 v9, 0, -1, vcc
	v_cmp_eq_u32_e32 vcc, s19, v10
	v_cndmask_b32_e32 v9, v13, v9, vcc
	v_cmp_ne_u32_e32 vcc, 0, v9
	v_cndmask_b32_e32 v10, v6, v11, vcc
	v_cndmask_b32_e64 v6, v14, v12, s[0:1]
	v_cndmask_b32_e32 v9, v2, v6, vcc
.LBB0_4:                                ;   in Loop: Header=BB0_2 Depth=1
	s_andn2_saveexec_b64 s[0:1], s[20:21]
	s_cbranch_execz .LBB0_6
; %bb.5:                                ;   in Loop: Header=BB0_2 Depth=1
	v_cvt_f32_u32_e32 v2, s18
	s_sub_i32 s20, 0, s18
	v_rcp_iflag_f32_e32 v2, v2
	v_mul_f32_e32 v2, 0x4f7ffffe, v2
	v_cvt_u32_f32_e32 v2, v2
	v_mul_lo_u32 v6, s20, v2
	v_mul_hi_u32 v6, v2, v6
	v_add_u32_e32 v2, v2, v6
	v_mul_hi_u32 v2, v7, v2
	v_mul_lo_u32 v6, v2, s18
	v_add_u32_e32 v9, 1, v2
	v_sub_u32_e32 v6, v7, v6
	v_subrev_u32_e32 v10, s18, v6
	v_cmp_le_u32_e32 vcc, s18, v6
	v_cndmask_b32_e32 v6, v6, v10, vcc
	v_cndmask_b32_e32 v2, v2, v9, vcc
	v_add_u32_e32 v9, 1, v2
	v_cmp_le_u32_e32 vcc, s18, v6
	v_cndmask_b32_e32 v9, v2, v9, vcc
	v_mov_b32_e32 v10, v5
.LBB0_6:                                ;   in Loop: Header=BB0_2 Depth=1
	s_or_b64 exec, exec, s[0:1]
	v_mul_lo_u32 v2, v10, s18
	v_mul_lo_u32 v6, v9, s19
	v_mad_u64_u32 v[11:12], s[0:1], v9, s18, 0
	s_load_dwordx2 s[0:1], s[6:7], 0x0
	s_add_u32 s14, s14, 1
	v_add3_u32 v2, v12, v6, v2
	v_sub_co_u32_e32 v6, vcc, v7, v11
	v_subb_co_u32_e32 v2, vcc, v8, v2, vcc
	s_waitcnt lgkmcnt(0)
	v_mul_lo_u32 v2, s0, v2
	v_mul_lo_u32 v7, s1, v6
	v_mad_u64_u32 v[3:4], s[0:1], s0, v6, v[3:4]
	s_addc_u32 s15, s15, 0
	s_add_u32 s6, s6, 8
	v_add3_u32 v4, v7, v4, v2
	v_mov_b32_e32 v6, s10
	v_mov_b32_e32 v7, s11
	s_addc_u32 s7, s7, 0
	v_cmp_ge_u64_e32 vcc, s[14:15], v[6:7]
	s_add_u32 s16, s16, 8
	s_addc_u32 s17, s17, 0
	s_cbranch_vccnz .LBB0_8
; %bb.7:                                ;   in Loop: Header=BB0_2 Depth=1
	v_mov_b32_e32 v7, v9
	v_mov_b32_e32 v8, v10
	s_branch .LBB0_2
.LBB0_8:
	s_lshl_b64 s[0:1], s[10:11], 3
	s_add_u32 s0, s12, s0
	s_addc_u32 s1, s13, s1
	s_load_dwordx2 s[0:1], s[0:1], 0x0
	s_mov_b32 s6, 0xb21642c9
	v_mul_hi_u32 v5, v1, s6
	s_waitcnt lgkmcnt(0)
	v_mul_lo_u32 v6, s0, v10
	v_mul_lo_u32 v7, s1, v9
	v_mad_u64_u32 v[2:3], s[0:1], s0, v9, v[3:4]
	s_load_dwordx2 s[0:1], s[4:5], 0x20
	v_lshrrev_b32_e32 v4, 4, v5
	s_mov_b32 s4, 0x1745d175
	v_mul_lo_u32 v4, v4, 23
	v_mul_hi_u32 v5, v0, s4
	v_add3_u32 v3, v7, v3, v6
	s_waitcnt lgkmcnt(0)
	v_cmp_gt_u64_e32 vcc, s[0:1], v[9:10]
	v_sub_u32_e32 v1, v1, v4
	v_mul_u32_u24_e32 v4, 11, v5
	v_mul_u32_u24_e32 v1, 0x43, v1
	v_sub_u32_e32 v44, v0, v4
	v_lshlrev_b64 v[46:47], 4, v[2:3]
	v_lshlrev_b32_e32 v0, 4, v1
	v_lshlrev_b32_e32 v97, 4, v44
	s_and_saveexec_b64 s[4:5], vcc
	s_cbranch_execz .LBB0_10
; %bb.9:
	v_mov_b32_e32 v45, 0
	v_mov_b32_e32 v1, s3
	v_add_co_u32_e64 v3, s[0:1], s2, v46
	v_addc_co_u32_e64 v4, s[0:1], v1, v47, s[0:1]
	v_lshlrev_b64 v[1:2], 4, v[44:45]
	v_add_co_u32_e64 v25, s[0:1], v3, v1
	v_addc_co_u32_e64 v26, s[0:1], v4, v2, s[0:1]
	global_load_dwordx4 v[1:4], v[25:26], off
	global_load_dwordx4 v[5:8], v[25:26], off offset:176
	global_load_dwordx4 v[9:12], v[25:26], off offset:352
	;; [unrolled: 1-line block ×5, first 2 shown]
	v_add3_u32 v25, 0, v0, v97
	s_waitcnt vmcnt(5)
	ds_write_b128 v25, v[1:4]
	s_waitcnt vmcnt(4)
	ds_write_b128 v25, v[5:8] offset:176
	s_waitcnt vmcnt(3)
	ds_write_b128 v25, v[9:12] offset:352
	;; [unrolled: 2-line block ×5, first 2 shown]
.LBB0_10:
	s_or_b64 exec, exec, s[4:5]
	v_add_u32_e32 v45, 0, v0
	v_add_u32_e32 v96, v45, v97
	s_waitcnt lgkmcnt(0)
	s_barrier
	v_add3_u32 v98, 0, v97, v0
	ds_read_b128 v[0:3], v96
	ds_read_b128 v[4:7], v98 offset:352
	ds_read_b128 v[8:11], v98 offset:528
	ds_read_b128 v[12:15], v98 offset:880
	ds_read_b128 v[16:19], v98 offset:704
	ds_read_b128 v[20:23], v98 offset:176
	s_mov_b32 s0, 0xe8584caa
	s_mov_b32 s1, 0x3febb67a
	s_waitcnt lgkmcnt(2)
	v_add_f64 v[28:29], v[10:11], v[14:15]
	v_add_f64 v[30:31], v[8:9], v[12:13]
	v_add_f64 v[36:37], v[10:11], -v[14:15]
	v_add_f64 v[38:39], v[8:9], -v[12:13]
	s_waitcnt lgkmcnt(0)
	v_add_f64 v[8:9], v[20:21], v[8:9]
	v_add_f64 v[10:11], v[22:23], v[10:11]
	s_mov_b32 s5, 0xbfebb67a
	s_mov_b32 s4, s0
	v_fma_f64 v[28:29], v[28:29], -0.5, v[22:23]
	v_fma_f64 v[30:31], v[30:31], -0.5, v[20:21]
	v_add_f64 v[24:25], v[0:1], v[4:5]
	v_add_f64 v[26:27], v[2:3], v[6:7]
	;; [unrolled: 1-line block ×3, first 2 shown]
	v_add_f64 v[34:35], v[6:7], -v[18:19]
	v_add_f64 v[6:7], v[6:7], v[18:19]
	v_add_f64 v[8:9], v[8:9], v[12:13]
	v_fma_f64 v[20:21], v[38:39], s[4:5], v[28:29]
	v_fma_f64 v[22:23], v[36:37], s[0:1], v[30:31]
	v_add_f64 v[10:11], v[10:11], v[14:15]
	v_fma_f64 v[12:13], v[36:37], s[4:5], v[30:31]
	v_fma_f64 v[14:15], v[38:39], s[0:1], v[28:29]
	v_add_f64 v[4:5], v[4:5], -v[16:17]
	v_add_f64 v[16:17], v[24:25], v[16:17]
	v_add_f64 v[18:19], v[26:27], v[18:19]
	v_mul_f64 v[24:25], v[20:21], s[0:1]
	v_mul_f64 v[26:27], v[22:23], s[4:5]
	v_fma_f64 v[28:29], v[32:33], -0.5, v[0:1]
	v_fma_f64 v[6:7], v[6:7], -0.5, v[2:3]
	v_mul_f64 v[30:31], v[12:13], -0.5
	v_mul_f64 v[32:33], v[14:15], -0.5
	v_add_f64 v[0:1], v[16:17], v[8:9]
	v_add_f64 v[2:3], v[18:19], v[10:11]
	v_fma_f64 v[22:23], v[22:23], 0.5, v[24:25]
	v_fma_f64 v[20:21], v[20:21], 0.5, v[26:27]
	v_fma_f64 v[24:25], v[34:35], s[0:1], v[28:29]
	v_fma_f64 v[26:27], v[4:5], s[4:5], v[6:7]
	;; [unrolled: 1-line block ×6, first 2 shown]
	v_add_f64 v[8:9], v[16:17], -v[8:9]
	v_add_f64 v[10:11], v[18:19], -v[10:11]
	v_add_f64 v[4:5], v[24:25], v[22:23]
	v_add_f64 v[6:7], v[26:27], v[20:21]
	v_add_f64 v[16:17], v[24:25], -v[22:23]
	v_add_f64 v[18:19], v[26:27], -v[20:21]
	v_add_f64 v[12:13], v[28:29], v[30:31]
	v_add_f64 v[14:15], v[34:35], v[32:33]
	v_add_f64 v[20:21], v[28:29], -v[30:31]
	v_add_f64 v[22:23], v[34:35], -v[32:33]
	s_movk_i32 s0, 0x50
	v_mad_u32_u24 v24, v44, s0, v98
	v_cmp_gt_u32_e64 s[0:1], 6, v44
	s_barrier
	ds_write_b128 v24, v[0:3]
	ds_write_b128 v24, v[4:7] offset:16
	ds_write_b128 v24, v[12:15] offset:32
	;; [unrolled: 1-line block ×5, first 2 shown]
	s_waitcnt lgkmcnt(0)
	s_barrier
	s_waitcnt lgkmcnt(0)
                                        ; implicit-def: $vgpr42_vgpr43
                                        ; implicit-def: $vgpr38_vgpr39
                                        ; implicit-def: $vgpr30_vgpr31
                                        ; implicit-def: $vgpr34_vgpr35
                                        ; implicit-def: $vgpr26_vgpr27
	s_and_saveexec_b64 s[4:5], s[0:1]
	s_cbranch_execz .LBB0_12
; %bb.11:
	ds_read_b128 v[0:3], v96
	ds_read_b128 v[4:7], v98 offset:96
	ds_read_b128 v[12:15], v98 offset:192
	;; [unrolled: 1-line block ×10, first 2 shown]
.LBB0_12:
	s_or_b64 exec, exec, s[4:5]
	s_waitcnt lgkmcnt(0)
	s_barrier
	s_and_saveexec_b64 s[4:5], s[0:1]
	s_cbranch_execz .LBB0_14
; %bb.13:
	v_add_u32_e32 v48, -6, v44
	v_cndmask_b32_e64 v48, v48, v44, s[0:1]
	v_mul_i32_i24_e32 v48, 10, v48
	v_mov_b32_e32 v49, 0
	v_lshlrev_b64 v[48:49], 4, v[48:49]
	v_mov_b32_e32 v50, s9
	v_add_co_u32_e64 v52, s[0:1], s8, v48
	v_addc_co_u32_e64 v53, s[0:1], v50, v49, s[0:1]
	global_load_dwordx4 v[48:51], v[52:53], off offset:64
	global_load_dwordx4 v[54:57], v[52:53], off offset:80
	global_load_dwordx4 v[60:63], v[52:53], off offset:48
	global_load_dwordx4 v[64:67], v[52:53], off offset:96
	global_load_dwordx4 v[68:71], v[52:53], off offset:32
	global_load_dwordx4 v[72:75], v[52:53], off offset:112
	global_load_dwordx4 v[76:79], v[52:53], off offset:16
	global_load_dwordx4 v[82:85], v[52:53], off
	global_load_dwordx4 v[86:89], v[52:53], off offset:144
	global_load_dwordx4 v[92:95], v[52:53], off offset:128
	s_mov_b32 s0, 0x9bcd5057
	s_mov_b32 s6, 0xfd768dbf
	;; [unrolled: 1-line block ×30, first 2 shown]
	s_waitcnt vmcnt(9)
	v_mul_f64 v[52:53], v[20:21], v[50:51]
	s_waitcnt vmcnt(8)
	v_mul_f64 v[80:81], v[24:25], v[56:57]
	v_mul_f64 v[50:51], v[22:23], v[50:51]
	;; [unrolled: 1-line block ×3, first 2 shown]
	s_waitcnt vmcnt(6)
	v_mul_f64 v[103:104], v[32:33], v[66:67]
	v_mul_f64 v[105:106], v[34:35], v[66:67]
	s_waitcnt vmcnt(4)
	v_mul_f64 v[109:110], v[28:29], v[74:75]
	s_waitcnt vmcnt(2)
	;; [unrolled: 2-line block ×3, first 2 shown]
	v_mul_f64 v[117:118], v[40:41], v[88:89]
	v_mul_f64 v[111:112], v[30:31], v[74:75]
	;; [unrolled: 1-line block ×6, first 2 shown]
	s_waitcnt vmcnt(0)
	v_mul_f64 v[119:120], v[36:37], v[94:95]
	v_mul_f64 v[121:122], v[38:39], v[94:95]
	v_fma_f64 v[56:57], v[22:23], v[48:49], v[52:53]
	v_fma_f64 v[52:53], v[26:27], v[54:55], v[80:81]
	;; [unrolled: 1-line block ×4, first 2 shown]
	v_mul_f64 v[107:108], v[8:9], v[70:71]
	v_fma_f64 v[58:59], v[20:21], v[48:49], -v[50:51]
	v_fma_f64 v[54:55], v[24:25], v[54:55], -v[90:91]
	v_fma_f64 v[48:49], v[34:35], v[64:65], v[103:104]
	v_fma_f64 v[50:51], v[32:33], v[64:65], -v[105:106]
	v_fma_f64 v[78:79], v[14:15], v[76:77], v[74:75]
	v_fma_f64 v[80:81], v[12:13], v[76:77], -v[113:114]
	v_fma_f64 v[90:91], v[4:5], v[82:83], -v[84:85]
	v_fma_f64 v[12:13], v[40:41], v[86:87], -v[88:89]
	v_fma_f64 v[32:33], v[38:39], v[92:93], v[119:120]
	v_fma_f64 v[34:35], v[36:37], v[92:93], -v[121:122]
	v_add_f64 v[92:93], v[94:95], v[26:27]
	v_add_f64 v[88:89], v[94:95], -v[26:27]
	v_mul_f64 v[99:100], v[16:17], v[62:63]
	v_mul_f64 v[70:71], v[10:11], v[70:71]
	v_fma_f64 v[74:75], v[10:11], v[68:69], v[107:108]
	v_fma_f64 v[36:37], v[30:31], v[72:73], v[109:110]
	v_fma_f64 v[38:39], v[28:29], v[72:73], -v[111:112]
	v_add_f64 v[86:87], v[90:91], -v[12:13]
	v_add_f64 v[82:83], v[78:79], v[32:33]
	v_add_f64 v[84:85], v[90:91], v[12:13]
	v_add_f64 v[72:73], v[78:79], -v[32:33]
	v_mul_f64 v[4:5], v[92:93], s[0:1]
	v_mul_f64 v[6:7], v[88:89], s[20:21]
	;; [unrolled: 1-line block ×3, first 2 shown]
	v_fma_f64 v[62:63], v[18:19], v[60:61], v[99:100]
	v_fma_f64 v[76:77], v[8:9], v[68:69], -v[70:71]
	v_add_f64 v[30:31], v[80:81], -v[34:35]
	v_add_f64 v[28:29], v[80:81], v[34:35]
	v_add_f64 v[70:71], v[74:75], v[36:37]
	v_add_f64 v[68:69], v[74:75], -v[36:37]
	v_mul_f64 v[8:9], v[82:83], s[10:11]
	v_mul_f64 v[10:11], v[72:73], s[34:35]
	v_fma_f64 v[107:108], v[86:87], s[6:7], v[4:5]
	v_fma_f64 v[109:110], v[84:85], s[0:1], v[6:7]
	v_fma_f64 v[66:67], v[16:17], v[60:61], -v[101:102]
	v_add_f64 v[24:25], v[76:77], -v[38:39]
	v_add_f64 v[22:23], v[76:77], v[38:39]
	v_add_f64 v[64:65], v[62:63], v[48:49]
	v_add_f64 v[60:61], v[62:63], -v[48:49]
	v_mul_f64 v[99:100], v[70:71], s[14:15]
	v_mul_f64 v[101:102], v[68:69], s[18:19]
	v_fma_f64 v[117:118], v[30:31], s[12:13], v[8:9]
	v_fma_f64 v[4:5], v[86:87], s[20:21], v[4:5]
	;; [unrolled: 1-line block ×3, first 2 shown]
	v_add_f64 v[107:108], v[2:3], v[107:108]
	v_add_f64 v[109:110], v[0:1], v[109:110]
	v_fma_f64 v[6:7], v[84:85], s[0:1], -v[6:7]
	v_add_f64 v[20:21], v[66:67], -v[50:51]
	v_add_f64 v[18:19], v[66:67], v[50:51]
	v_mul_f64 v[103:104], v[64:65], s[22:23]
	v_mul_f64 v[105:106], v[60:61], s[30:31]
	v_fma_f64 v[8:9], v[30:31], s[34:35], v[8:9]
	v_fma_f64 v[123:124], v[24:25], s[16:17], v[99:100]
	;; [unrolled: 1-line block ×3, first 2 shown]
	v_add_f64 v[4:5], v[2:3], v[4:5]
	v_add_f64 v[107:108], v[117:118], v[107:108]
	v_add_f64 v[109:110], v[119:120], v[109:110]
	v_fma_f64 v[10:11], v[28:29], s[10:11], -v[10:11]
	v_add_f64 v[6:7], v[0:1], v[6:7]
	v_add_f64 v[42:43], v[56:57], v[52:53]
	v_add_f64 v[40:41], v[56:57], -v[52:53]
	v_mul_f64 v[115:116], v[92:93], s[14:15]
	v_fma_f64 v[99:100], v[24:25], s[18:19], v[99:100]
	v_fma_f64 v[117:118], v[20:21], s[36:37], v[103:104]
	;; [unrolled: 1-line block ×3, first 2 shown]
	v_add_f64 v[4:5], v[8:9], v[4:5]
	v_add_f64 v[8:9], v[123:124], v[107:108]
	;; [unrolled: 1-line block ×3, first 2 shown]
	v_mul_f64 v[109:110], v[88:89], s[18:19]
	v_fma_f64 v[101:102], v[22:23], s[14:15], -v[101:102]
	v_add_f64 v[6:7], v[10:11], v[6:7]
	v_add_f64 v[14:15], v[58:59], -v[54:55]
	v_add_f64 v[16:17], v[58:59], v[54:55]
	v_mul_f64 v[111:112], v[42:43], s[24:25]
	v_mul_f64 v[113:114], v[40:41], s[28:29]
	;; [unrolled: 1-line block ×3, first 2 shown]
	v_fma_f64 v[10:11], v[86:87], s[16:17], v[115:116]
	v_add_f64 v[99:100], v[99:100], v[4:5]
	v_add_f64 v[4:5], v[117:118], v[8:9]
	;; [unrolled: 1-line block ×3, first 2 shown]
	v_fma_f64 v[103:104], v[20:21], s[30:31], v[103:104]
	v_fma_f64 v[105:106], v[18:19], s[22:23], -v[105:106]
	v_add_f64 v[101:102], v[101:102], v[6:7]
	v_fma_f64 v[119:120], v[84:85], s[14:15], v[109:110]
	v_mul_f64 v[125:126], v[72:73], s[26:27]
	v_fma_f64 v[123:124], v[14:15], s[26:27], v[111:112]
	v_fma_f64 v[107:108], v[16:17], s[24:25], v[113:114]
	;; [unrolled: 1-line block ×3, first 2 shown]
	v_add_f64 v[10:11], v[2:3], v[10:11]
	v_add_f64 v[99:100], v[103:104], v[99:100]
	;; [unrolled: 1-line block ×4, first 2 shown]
	v_fma_f64 v[105:106], v[28:29], s[24:25], v[125:126]
	v_add_f64 v[6:7], v[123:124], v[4:5]
	v_add_f64 v[4:5], v[107:108], v[8:9]
	v_mul_f64 v[8:9], v[70:71], s[10:11]
	v_fma_f64 v[107:108], v[14:15], s[28:29], v[111:112]
	v_mul_f64 v[111:112], v[68:69], s[12:13]
	v_add_f64 v[117:118], v[117:118], v[10:11]
	v_fma_f64 v[10:11], v[86:87], s[18:19], v[115:116]
	v_add_f64 v[103:104], v[105:106], v[103:104]
	v_fma_f64 v[105:106], v[84:85], s[14:15], -v[109:110]
	v_mul_f64 v[119:120], v[64:65], s[0:1]
	v_fma_f64 v[115:116], v[24:25], s[34:35], v[8:9]
	v_mul_f64 v[123:124], v[60:61], s[20:21]
	v_fma_f64 v[109:110], v[22:23], s[10:11], v[111:112]
	v_fma_f64 v[121:122], v[30:31], s[26:27], v[121:122]
	v_add_f64 v[127:128], v[2:3], v[10:11]
	v_add_f64 v[10:11], v[107:108], v[99:100]
	v_fma_f64 v[107:108], v[28:29], s[24:25], -v[125:126]
	v_add_f64 v[105:106], v[0:1], v[105:106]
	v_add_f64 v[99:100], v[115:116], v[117:118]
	v_fma_f64 v[115:116], v[20:21], s[6:7], v[119:120]
	v_add_f64 v[103:104], v[109:110], v[103:104]
	v_fma_f64 v[109:110], v[18:19], s[0:1], v[123:124]
	;; [unrolled: 2-line block ×3, first 2 shown]
	v_mul_f64 v[121:122], v[92:93], s[24:25]
	v_mul_f64 v[125:126], v[42:43], s[22:23]
	v_add_f64 v[105:106], v[107:108], v[105:106]
	v_fma_f64 v[107:108], v[22:23], s[10:11], -v[111:112]
	v_mul_f64 v[111:112], v[40:41], s[30:31]
	v_fma_f64 v[113:114], v[16:17], s[24:25], -v[113:114]
	v_add_f64 v[99:100], v[115:116], v[99:100]
	v_add_f64 v[103:104], v[109:110], v[103:104]
	v_add_f64 v[109:110], v[8:9], v[117:118]
	v_fma_f64 v[115:116], v[86:87], s[26:27], v[121:122]
	v_mul_f64 v[117:118], v[82:83], s[0:1]
	v_fma_f64 v[127:128], v[14:15], s[36:37], v[125:126]
	v_add_f64 v[105:106], v[107:108], v[105:106]
	v_fma_f64 v[107:108], v[16:17], s[22:23], v[111:112]
	v_fma_f64 v[119:120], v[20:21], s[20:21], v[119:120]
	v_fma_f64 v[123:124], v[18:19], s[0:1], -v[123:124]
	v_add_f64 v[8:9], v[113:114], v[101:102]
	v_add_f64 v[113:114], v[2:3], v[115:116]
	v_fma_f64 v[115:116], v[30:31], s[20:21], v[117:118]
	v_mul_f64 v[129:130], v[70:71], s[22:23]
	v_add_f64 v[101:102], v[127:128], v[99:100]
	v_add_f64 v[99:100], v[107:108], v[103:104]
	;; [unrolled: 1-line block ×4, first 2 shown]
	v_fma_f64 v[105:106], v[14:15], s[30:31], v[125:126]
	v_mul_f64 v[119:120], v[88:89], s[28:29]
	v_add_f64 v[109:110], v[115:116], v[113:114]
	v_fma_f64 v[113:114], v[24:25], s[36:37], v[129:130]
	v_mul_f64 v[115:116], v[92:93], s[22:23]
	v_mul_f64 v[127:128], v[72:73], s[6:7]
	;; [unrolled: 1-line block ×4, first 2 shown]
	v_add_f64 v[105:106], v[105:106], v[103:104]
	v_fma_f64 v[103:104], v[84:85], s[24:25], v[119:120]
	v_mul_f64 v[123:124], v[64:65], s[10:11]
	v_add_f64 v[109:110], v[113:114], v[109:110]
	v_fma_f64 v[113:114], v[86:87], s[36:37], v[115:116]
	v_fma_f64 v[139:140], v[28:29], s[0:1], v[127:128]
	;; [unrolled: 1-line block ×3, first 2 shown]
	v_mul_f64 v[145:146], v[70:71], s[0:1]
	v_mul_f64 v[151:152], v[60:61], s[12:13]
	v_add_f64 v[103:104], v[0:1], v[103:104]
	v_add_f64 v[94:95], v[2:3], v[94:95]
	v_fma_f64 v[133:134], v[20:21], s[34:35], v[123:124]
	v_add_f64 v[113:114], v[2:3], v[113:114]
	v_mul_f64 v[153:154], v[64:65], s[24:25]
	v_add_f64 v[90:91], v[0:1], v[90:91]
	v_fma_f64 v[111:112], v[16:17], s[22:23], -v[111:112]
	v_mul_f64 v[125:126], v[88:89], s[36:37]
	v_add_f64 v[103:104], v[139:140], v[103:104]
	v_fma_f64 v[139:140], v[22:23], s[22:23], v[141:142]
	v_add_f64 v[94:95], v[94:95], v[78:79]
	v_add_f64 v[113:114], v[143:144], v[113:114]
	v_fma_f64 v[143:144], v[24:25], s[6:7], v[145:146]
	v_add_f64 v[109:110], v[133:134], v[109:110]
	v_add_f64 v[90:91], v[90:91], v[80:81]
	v_mul_f64 v[92:93], v[92:93], s[10:11]
	v_mul_f64 v[88:89], v[88:89], s[12:13]
	v_add_f64 v[103:104], v[139:140], v[103:104]
	v_fma_f64 v[139:140], v[18:19], s[10:11], v[151:152]
	v_add_f64 v[74:75], v[94:95], v[74:75]
	v_add_f64 v[113:114], v[143:144], v[113:114]
	v_fma_f64 v[143:144], v[20:21], s[26:27], v[153:154]
	v_add_f64 v[76:77], v[90:91], v[76:77]
	v_fma_f64 v[135:136], v[84:85], s[22:23], -v[125:126]
	v_mul_f64 v[137:138], v[72:73], s[18:19]
	v_fma_f64 v[90:91], v[84:85], s[24:25], -v[119:120]
	v_add_f64 v[133:134], v[139:140], v[103:104]
	v_mul_f64 v[139:140], v[42:43], s[10:11]
	v_add_f64 v[62:63], v[74:75], v[62:63]
	v_add_f64 v[113:114], v[143:144], v[113:114]
	;; [unrolled: 1-line block ×3, first 2 shown]
	v_fma_f64 v[111:112], v[86:87], s[28:29], v[121:122]
	v_mul_f64 v[82:83], v[82:83], s[22:23]
	v_fma_f64 v[94:95], v[84:85], s[10:11], v[88:89]
	v_add_f64 v[66:67], v[76:77], v[66:67]
	v_fma_f64 v[143:144], v[14:15], s[34:35], v[139:140]
	v_mul_f64 v[72:73], v[72:73], s[36:37]
	v_add_f64 v[56:57], v[62:63], v[56:57]
	v_mul_f64 v[70:71], v[70:71], s[24:25]
	v_mul_f64 v[155:156], v[60:61], s[26:27]
	;; [unrolled: 1-line block ×4, first 2 shown]
	v_add_f64 v[58:59], v[66:67], v[58:59]
	v_add_f64 v[80:81], v[143:144], v[113:114]
	v_fma_f64 v[113:114], v[86:87], s[30:31], v[115:116]
	v_fma_f64 v[115:116], v[86:87], s[34:35], v[92:93]
	;; [unrolled: 1-line block ×4, first 2 shown]
	v_fma_f64 v[84:85], v[84:85], s[10:11], -v[88:89]
	v_fma_f64 v[62:63], v[28:29], s[22:23], -v[72:73]
	v_mul_f64 v[66:67], v[68:69], s[28:29]
	v_add_f64 v[52:53], v[56:57], v[52:53]
	v_add_f64 v[54:55], v[58:59], v[54:55]
	v_mul_f64 v[157:158], v[42:43], s[14:15]
	v_add_f64 v[76:77], v[2:3], v[86:87]
	v_fma_f64 v[86:87], v[30:31], s[36:37], v[82:83]
	v_add_f64 v[84:85], v[0:1], v[84:85]
	v_mul_f64 v[42:43], v[42:43], s[0:1]
	v_fma_f64 v[58:59], v[22:23], s[24:25], -v[66:67]
	v_add_f64 v[48:49], v[52:53], v[48:49]
	v_add_f64 v[50:51], v[54:55], v[50:51]
	v_fma_f64 v[52:53], v[20:21], s[18:19], v[64:65]
	v_add_f64 v[74:75], v[2:3], v[111:112]
	v_add_f64 v[76:77], v[86:87], v[76:77]
	v_fma_f64 v[86:87], v[24:25], s[28:29], v[70:71]
	v_add_f64 v[56:57], v[62:63], v[84:85]
	v_add_f64 v[62:63], v[2:3], v[113:114]
	v_mul_f64 v[149:150], v[68:69], s[6:7]
	v_add_f64 v[68:69], v[0:1], v[90:91]
	v_add_f64 v[135:136], v[0:1], v[135:136]
	v_fma_f64 v[147:148], v[28:29], s[14:15], -v[137:138]
	v_add_f64 v[84:85], v[0:1], v[92:93]
	v_add_f64 v[76:77], v[86:87], v[76:77]
	;; [unrolled: 1-line block ×3, first 2 shown]
	v_fma_f64 v[56:57], v[18:19], s[14:15], -v[60:61]
	v_add_f64 v[58:59], v[2:3], v[115:116]
	v_add_f64 v[2:3], v[48:49], v[36:37]
	;; [unrolled: 1-line block ×3, first 2 shown]
	v_fma_f64 v[38:39], v[30:31], s[6:7], v[117:118]
	v_add_f64 v[0:1], v[0:1], v[94:95]
	v_add_f64 v[48:49], v[52:53], v[76:77]
	v_fma_f64 v[52:53], v[14:15], s[20:21], v[42:43]
	v_add_f64 v[50:51], v[56:57], v[54:55]
	v_fma_f64 v[54:55], v[28:29], s[0:1], -v[127:128]
	v_add_f64 v[32:33], v[2:3], v[32:33]
	v_add_f64 v[34:35], v[36:37], v[34:35]
	;; [unrolled: 1-line block ×3, first 2 shown]
	v_fma_f64 v[38:39], v[24:25], s[30:31], v[129:130]
	v_fma_f64 v[56:57], v[30:31], s[16:17], v[131:132]
	v_add_f64 v[2:3], v[52:53], v[48:49]
	v_fma_f64 v[30:31], v[30:31], s[30:31], v[82:83]
	v_add_f64 v[48:49], v[54:55], v[68:69]
	v_fma_f64 v[54:55], v[28:29], s[14:15], v[137:138]
	v_fma_f64 v[28:29], v[28:29], s[22:23], v[72:73]
	v_add_f64 v[135:136], v[147:148], v[135:136]
	v_fma_f64 v[147:148], v[22:23], s[0:1], -v[149:150]
	v_add_f64 v[26:27], v[32:33], v[26:27]
	v_fma_f64 v[32:33], v[22:23], s[22:23], -v[141:142]
	v_add_f64 v[36:37], v[38:39], v[36:37]
	v_add_f64 v[38:39], v[56:57], v[62:63]
	v_fma_f64 v[56:57], v[24:25], s[20:21], v[145:146]
	v_add_f64 v[54:55], v[54:55], v[84:85]
	v_fma_f64 v[68:69], v[22:23], s[0:1], v[149:150]
	v_fma_f64 v[24:25], v[24:25], s[26:27], v[70:71]
	v_add_f64 v[30:31], v[30:31], v[58:59]
	v_fma_f64 v[22:23], v[22:23], s[24:25], v[66:67]
	v_add_f64 v[0:1], v[28:29], v[0:1]
	v_mul_f64 v[159:160], v[40:41], s[18:19]
	v_mul_f64 v[161:162], v[40:41], s[34:35]
	;; [unrolled: 1-line block ×3, first 2 shown]
	v_add_f64 v[135:136], v[147:148], v[135:136]
	v_fma_f64 v[147:148], v[18:19], s[24:25], -v[155:156]
	v_fma_f64 v[62:63], v[20:21], s[12:13], v[123:124]
	v_add_f64 v[32:33], v[32:33], v[48:49]
	v_fma_f64 v[48:49], v[18:19], s[10:11], -v[151:152]
	v_add_f64 v[38:39], v[56:57], v[38:39]
	v_fma_f64 v[56:57], v[20:21], s[28:29], v[153:154]
	v_add_f64 v[54:55], v[68:69], v[54:55]
	v_fma_f64 v[58:59], v[18:19], s[24:25], v[155:156]
	v_fma_f64 v[20:21], v[20:21], s[16:17], v[64:65]
	v_add_f64 v[24:25], v[24:25], v[30:31]
	v_fma_f64 v[18:19], v[18:19], s[14:15], v[60:61]
	v_add_f64 v[0:1], v[22:23], v[0:1]
	v_fma_f64 v[52:53], v[16:17], s[0:1], -v[40:41]
	v_add_f64 v[135:136], v[147:148], v[135:136]
	v_fma_f64 v[147:148], v[16:17], s[10:11], -v[161:162]
	v_add_f64 v[28:29], v[62:63], v[36:37]
	v_add_f64 v[32:33], v[48:49], v[32:33]
	v_fma_f64 v[22:23], v[14:15], s[18:19], v[157:158]
	v_fma_f64 v[48:49], v[16:17], s[14:15], -v[159:160]
	v_fma_f64 v[163:164], v[14:15], s[16:17], v[157:158]
	v_fma_f64 v[165:166], v[16:17], s[14:15], v[159:160]
	v_add_f64 v[36:37], v[56:57], v[38:39]
	v_add_f64 v[30:31], v[58:59], v[54:55]
	v_fma_f64 v[38:39], v[14:15], s[12:13], v[139:140]
	v_fma_f64 v[42:43], v[14:15], s[6:7], v[42:43]
	v_add_f64 v[20:21], v[20:21], v[24:25]
	v_fma_f64 v[54:55], v[16:17], s[10:11], v[161:162]
	v_fma_f64 v[40:41], v[16:17], s[0:1], v[40:41]
	v_add_f64 v[56:57], v[18:19], v[0:1]
	v_add_f64 v[24:25], v[34:35], v[12:13]
	;; [unrolled: 1-line block ×12, first 2 shown]
	ds_write_b128 v96, v[24:27]
	ds_write_b128 v98, v[0:3] offset:96
	ds_write_b128 v98, v[78:81] offset:192
	ds_write_b128 v98, v[12:15] offset:288
	ds_write_b128 v98, v[103:106] offset:384
	ds_write_b128 v98, v[8:11] offset:480
	ds_write_b128 v98, v[4:7] offset:576
	ds_write_b128 v98, v[99:102] offset:672
	ds_write_b128 v98, v[107:110] offset:768
	ds_write_b128 v98, v[16:19] offset:864
	ds_write_b128 v98, v[20:23] offset:960
.LBB0_14:
	s_or_b64 exec, exec, s[4:5]
	s_waitcnt lgkmcnt(0)
	s_barrier
	ds_read_b128 v[0:3], v96
	v_sub_u32_e32 v10, v45, v97
	v_cmp_ne_u32_e64 s[0:1], 0, v44
                                        ; implicit-def: $vgpr6_vgpr7
                                        ; implicit-def: $vgpr4_vgpr5
                                        ; implicit-def: $vgpr8_vgpr9
	s_and_saveexec_b64 s[4:5], s[0:1]
	s_xor_b64 s[4:5], exec, s[4:5]
	s_cbranch_execz .LBB0_16
; %bb.15:
	v_mov_b32_e32 v45, 0
	v_lshlrev_b64 v[4:5], 4, v[44:45]
	v_mov_b32_e32 v6, s9
	v_add_co_u32_e64 v4, s[0:1], s8, v4
	v_addc_co_u32_e64 v5, s[0:1], v6, v5, s[0:1]
	global_load_dwordx4 v[6:9], v[4:5], off offset:960
	ds_read_b128 v[11:14], v10 offset:1056
	s_waitcnt lgkmcnt(0)
	v_add_f64 v[4:5], v[0:1], -v[11:12]
	v_add_f64 v[15:16], v[2:3], v[13:14]
	v_add_f64 v[2:3], v[2:3], -v[13:14]
	v_add_f64 v[0:1], v[0:1], v[11:12]
	v_mul_f64 v[4:5], v[4:5], 0.5
	v_mul_f64 v[13:14], v[15:16], 0.5
	;; [unrolled: 1-line block ×3, first 2 shown]
	s_waitcnt vmcnt(0)
	v_mul_f64 v[11:12], v[4:5], v[8:9]
	v_fma_f64 v[15:16], v[13:14], v[8:9], v[2:3]
	v_fma_f64 v[2:3], v[13:14], v[8:9], -v[2:3]
	v_fma_f64 v[8:9], v[0:1], 0.5, v[11:12]
	v_fma_f64 v[0:1], v[0:1], 0.5, -v[11:12]
	v_fma_f64 v[11:12], -v[6:7], v[4:5], v[15:16]
	v_fma_f64 v[2:3], -v[6:7], v[4:5], v[2:3]
	ds_write_b64 v96, v[11:12] offset:8
	ds_write_b64 v10, v[2:3] offset:1064
	v_fma_f64 v[4:5], v[13:14], v[6:7], v[8:9]
	v_mov_b32_e32 v8, v44
	v_fma_f64 v[6:7], -v[13:14], v[6:7], v[0:1]
	v_mov_b32_e32 v9, v45
                                        ; implicit-def: $vgpr0_vgpr1
                                        ; implicit-def: $vgpr45
.LBB0_16:
	s_andn2_saveexec_b64 s[0:1], s[4:5]
	s_cbranch_execz .LBB0_18
; %bb.17:
	s_mov_b32 s4, 0
	s_mov_b32 s5, s4
	v_mov_b32_e32 v9, s5
	s_waitcnt lgkmcnt(0)
	v_add_f64 v[4:5], v[0:1], v[2:3]
	v_mov_b32_e32 v8, s4
	v_add_f64 v[6:7], v[0:1], -v[2:3]
	ds_write_b64 v96, v[8:9] offset:8
	ds_write_b64 v10, v[8:9] offset:1064
	ds_read_b64 v[0:1], v45 offset:536
	v_mov_b32_e32 v8, 0
	v_mov_b32_e32 v9, 0
	s_waitcnt lgkmcnt(0)
	v_xor_b32_e32 v1, 0x80000000, v1
	ds_write_b64 v45, v[0:1] offset:536
.LBB0_18:
	s_or_b64 exec, exec, s[0:1]
	s_add_u32 s0, s8, 0x3c0
	s_waitcnt lgkmcnt(0)
	v_lshlrev_b64 v[0:1], 4, v[8:9]
	s_addc_u32 s1, s9, 0
	v_mov_b32_e32 v3, s1
	v_add_co_u32_e64 v2, s[0:1], s0, v0
	v_addc_co_u32_e64 v3, s[0:1], v3, v1, s[0:1]
	global_load_dwordx4 v[11:14], v[2:3], off offset:176
	global_load_dwordx4 v[15:18], v[2:3], off offset:352
	ds_write_b64 v96, v[4:5]
	ds_write_b64 v10, v[6:7] offset:1056
	ds_read_b128 v[2:5], v96 offset:176
	ds_read_b128 v[6:9], v10 offset:880
	s_waitcnt lgkmcnt(0)
	v_add_f64 v[19:20], v[2:3], -v[6:7]
	v_add_f64 v[21:22], v[4:5], v[8:9]
	v_add_f64 v[4:5], v[4:5], -v[8:9]
	v_add_f64 v[2:3], v[2:3], v[6:7]
	v_mul_f64 v[8:9], v[19:20], 0.5
	v_mul_f64 v[19:20], v[21:22], 0.5
	;; [unrolled: 1-line block ×3, first 2 shown]
	s_waitcnt vmcnt(1)
	v_mul_f64 v[6:7], v[8:9], v[13:14]
	v_fma_f64 v[21:22], v[19:20], v[13:14], v[4:5]
	v_fma_f64 v[4:5], v[19:20], v[13:14], -v[4:5]
	v_fma_f64 v[13:14], v[2:3], 0.5, v[6:7]
	v_fma_f64 v[2:3], v[2:3], 0.5, -v[6:7]
	v_fma_f64 v[6:7], -v[11:12], v[8:9], v[21:22]
	v_fma_f64 v[4:5], -v[11:12], v[8:9], v[4:5]
	v_fma_f64 v[8:9], v[19:20], v[11:12], v[13:14]
	v_fma_f64 v[2:3], -v[19:20], v[11:12], v[2:3]
	ds_write2_b64 v96, v[8:9], v[6:7] offset0:22 offset1:23
	ds_write_b128 v10, v[2:5] offset:880
	ds_read_b128 v[2:5], v96 offset:352
	ds_read_b128 v[6:9], v10 offset:704
	s_waitcnt lgkmcnt(0)
	v_add_f64 v[11:12], v[2:3], -v[6:7]
	v_add_f64 v[13:14], v[4:5], v[8:9]
	v_add_f64 v[4:5], v[4:5], -v[8:9]
	v_add_f64 v[2:3], v[2:3], v[6:7]
	v_mul_f64 v[8:9], v[11:12], 0.5
	v_mul_f64 v[11:12], v[13:14], 0.5
	;; [unrolled: 1-line block ×3, first 2 shown]
	s_waitcnt vmcnt(0)
	v_mul_f64 v[6:7], v[8:9], v[17:18]
	v_fma_f64 v[13:14], v[11:12], v[17:18], v[4:5]
	v_fma_f64 v[4:5], v[11:12], v[17:18], -v[4:5]
	v_fma_f64 v[17:18], v[2:3], 0.5, v[6:7]
	v_fma_f64 v[2:3], v[2:3], 0.5, -v[6:7]
	v_fma_f64 v[6:7], -v[15:16], v[8:9], v[13:14]
	v_fma_f64 v[4:5], -v[15:16], v[8:9], v[4:5]
	v_fma_f64 v[8:9], v[11:12], v[15:16], v[17:18]
	v_fma_f64 v[2:3], -v[11:12], v[15:16], v[2:3]
	ds_write2_b64 v96, v[8:9], v[6:7] offset0:44 offset1:45
	ds_write_b128 v10, v[2:5] offset:704
	s_waitcnt lgkmcnt(0)
	s_barrier
	s_and_saveexec_b64 s[0:1], vcc
	s_cbranch_execz .LBB0_21
; %bb.19:
	ds_read_b128 v[4:7], v96
	ds_read_b128 v[8:11], v96 offset:176
	v_mov_b32_e32 v3, s3
	v_add_co_u32_e32 v2, vcc, s2, v46
	v_addc_co_u32_e32 v3, vcc, v3, v47, vcc
	v_add_co_u32_e32 v0, vcc, v2, v0
	v_addc_co_u32_e32 v1, vcc, v3, v1, vcc
	s_waitcnt lgkmcnt(1)
	global_store_dwordx4 v[0:1], v[4:7], off
	ds_read_b128 v[4:7], v96 offset:352
	ds_read_b128 v[12:15], v96 offset:528
	;; [unrolled: 1-line block ×4, first 2 shown]
	v_cmp_eq_u32_e32 vcc, 10, v44
	s_waitcnt lgkmcnt(4)
	global_store_dwordx4 v[0:1], v[8:11], off offset:176
	s_waitcnt lgkmcnt(3)
	global_store_dwordx4 v[0:1], v[4:7], off offset:352
	;; [unrolled: 2-line block ×5, first 2 shown]
	s_and_b64 exec, exec, vcc
	s_cbranch_execz .LBB0_21
; %bb.20:
	ds_read_b128 v[4:7], v96 offset:896
	s_waitcnt lgkmcnt(0)
	global_store_dwordx4 v[2:3], v[4:7], off offset:1056
.LBB0_21:
	s_endpgm
	.section	.rodata,"a",@progbits
	.p2align	6, 0x0
	.amdhsa_kernel fft_rtc_fwd_len66_factors_6_11_wgs_253_tpt_11_dp_ip_CI_unitstride_sbrr_R2C_dirReg
		.amdhsa_group_segment_fixed_size 0
		.amdhsa_private_segment_fixed_size 0
		.amdhsa_kernarg_size 88
		.amdhsa_user_sgpr_count 6
		.amdhsa_user_sgpr_private_segment_buffer 1
		.amdhsa_user_sgpr_dispatch_ptr 0
		.amdhsa_user_sgpr_queue_ptr 0
		.amdhsa_user_sgpr_kernarg_segment_ptr 1
		.amdhsa_user_sgpr_dispatch_id 0
		.amdhsa_user_sgpr_flat_scratch_init 0
		.amdhsa_user_sgpr_private_segment_size 0
		.amdhsa_uses_dynamic_stack 0
		.amdhsa_system_sgpr_private_segment_wavefront_offset 0
		.amdhsa_system_sgpr_workgroup_id_x 1
		.amdhsa_system_sgpr_workgroup_id_y 0
		.amdhsa_system_sgpr_workgroup_id_z 0
		.amdhsa_system_sgpr_workgroup_info 0
		.amdhsa_system_vgpr_workitem_id 0
		.amdhsa_next_free_vgpr 167
		.amdhsa_next_free_sgpr 38
		.amdhsa_reserve_vcc 1
		.amdhsa_reserve_flat_scratch 0
		.amdhsa_float_round_mode_32 0
		.amdhsa_float_round_mode_16_64 0
		.amdhsa_float_denorm_mode_32 3
		.amdhsa_float_denorm_mode_16_64 3
		.amdhsa_dx10_clamp 1
		.amdhsa_ieee_mode 1
		.amdhsa_fp16_overflow 0
		.amdhsa_exception_fp_ieee_invalid_op 0
		.amdhsa_exception_fp_denorm_src 0
		.amdhsa_exception_fp_ieee_div_zero 0
		.amdhsa_exception_fp_ieee_overflow 0
		.amdhsa_exception_fp_ieee_underflow 0
		.amdhsa_exception_fp_ieee_inexact 0
		.amdhsa_exception_int_div_zero 0
	.end_amdhsa_kernel
	.text
.Lfunc_end0:
	.size	fft_rtc_fwd_len66_factors_6_11_wgs_253_tpt_11_dp_ip_CI_unitstride_sbrr_R2C_dirReg, .Lfunc_end0-fft_rtc_fwd_len66_factors_6_11_wgs_253_tpt_11_dp_ip_CI_unitstride_sbrr_R2C_dirReg
                                        ; -- End function
	.section	.AMDGPU.csdata,"",@progbits
; Kernel info:
; codeLenInByte = 6116
; NumSgprs: 42
; NumVgprs: 167
; ScratchSize: 0
; MemoryBound: 0
; FloatMode: 240
; IeeeMode: 1
; LDSByteSize: 0 bytes/workgroup (compile time only)
; SGPRBlocks: 5
; VGPRBlocks: 41
; NumSGPRsForWavesPerEU: 42
; NumVGPRsForWavesPerEU: 167
; Occupancy: 1
; WaveLimiterHint : 1
; COMPUTE_PGM_RSRC2:SCRATCH_EN: 0
; COMPUTE_PGM_RSRC2:USER_SGPR: 6
; COMPUTE_PGM_RSRC2:TRAP_HANDLER: 0
; COMPUTE_PGM_RSRC2:TGID_X_EN: 1
; COMPUTE_PGM_RSRC2:TGID_Y_EN: 0
; COMPUTE_PGM_RSRC2:TGID_Z_EN: 0
; COMPUTE_PGM_RSRC2:TIDIG_COMP_CNT: 0
	.type	__hip_cuid_50cfd2465b79ef,@object ; @__hip_cuid_50cfd2465b79ef
	.section	.bss,"aw",@nobits
	.globl	__hip_cuid_50cfd2465b79ef
__hip_cuid_50cfd2465b79ef:
	.byte	0                               ; 0x0
	.size	__hip_cuid_50cfd2465b79ef, 1

	.ident	"AMD clang version 19.0.0git (https://github.com/RadeonOpenCompute/llvm-project roc-6.4.0 25133 c7fe45cf4b819c5991fe208aaa96edf142730f1d)"
	.section	".note.GNU-stack","",@progbits
	.addrsig
	.addrsig_sym __hip_cuid_50cfd2465b79ef
	.amdgpu_metadata
---
amdhsa.kernels:
  - .args:
      - .actual_access:  read_only
        .address_space:  global
        .offset:         0
        .size:           8
        .value_kind:     global_buffer
      - .offset:         8
        .size:           8
        .value_kind:     by_value
      - .actual_access:  read_only
        .address_space:  global
        .offset:         16
        .size:           8
        .value_kind:     global_buffer
      - .actual_access:  read_only
        .address_space:  global
        .offset:         24
        .size:           8
        .value_kind:     global_buffer
      - .offset:         32
        .size:           8
        .value_kind:     by_value
      - .actual_access:  read_only
        .address_space:  global
        .offset:         40
        .size:           8
        .value_kind:     global_buffer
      - .actual_access:  read_only
        .address_space:  global
        .offset:         48
        .size:           8
        .value_kind:     global_buffer
      - .offset:         56
        .size:           4
        .value_kind:     by_value
      - .actual_access:  read_only
        .address_space:  global
        .offset:         64
        .size:           8
        .value_kind:     global_buffer
      - .actual_access:  read_only
        .address_space:  global
        .offset:         72
        .size:           8
        .value_kind:     global_buffer
      - .address_space:  global
        .offset:         80
        .size:           8
        .value_kind:     global_buffer
    .group_segment_fixed_size: 0
    .kernarg_segment_align: 8
    .kernarg_segment_size: 88
    .language:       OpenCL C
    .language_version:
      - 2
      - 0
    .max_flat_workgroup_size: 253
    .name:           fft_rtc_fwd_len66_factors_6_11_wgs_253_tpt_11_dp_ip_CI_unitstride_sbrr_R2C_dirReg
    .private_segment_fixed_size: 0
    .sgpr_count:     42
    .sgpr_spill_count: 0
    .symbol:         fft_rtc_fwd_len66_factors_6_11_wgs_253_tpt_11_dp_ip_CI_unitstride_sbrr_R2C_dirReg.kd
    .uniform_work_group_size: 1
    .uses_dynamic_stack: false
    .vgpr_count:     167
    .vgpr_spill_count: 0
    .wavefront_size: 64
amdhsa.target:   amdgcn-amd-amdhsa--gfx906
amdhsa.version:
  - 1
  - 2
...

	.end_amdgpu_metadata
